;; amdgpu-corpus repo=ROCm/rocFFT kind=compiled arch=gfx1201 opt=O3
	.text
	.amdgcn_target "amdgcn-amd-amdhsa--gfx1201"
	.amdhsa_code_object_version 6
	.protected	fft_rtc_back_len75_factors_5_3_5_wgs_195_tpt_15_dim1_dp_ip_CI_unitstride_sbrr_dirReg ; -- Begin function fft_rtc_back_len75_factors_5_3_5_wgs_195_tpt_15_dim1_dp_ip_CI_unitstride_sbrr_dirReg
	.globl	fft_rtc_back_len75_factors_5_3_5_wgs_195_tpt_15_dim1_dp_ip_CI_unitstride_sbrr_dirReg
	.p2align	8
	.type	fft_rtc_back_len75_factors_5_3_5_wgs_195_tpt_15_dim1_dp_ip_CI_unitstride_sbrr_dirReg,@function
fft_rtc_back_len75_factors_5_3_5_wgs_195_tpt_15_dim1_dp_ip_CI_unitstride_sbrr_dirReg: ; @fft_rtc_back_len75_factors_5_3_5_wgs_195_tpt_15_dim1_dp_ip_CI_unitstride_sbrr_dirReg
; %bb.0:
	s_load_b128 s[4:7], s[0:1], 0x10
	v_mul_u32_u24_e32 v1, 0x1112, v0
                                        ; implicit-def: $vgpr6_vgpr7
                                        ; implicit-def: $vgpr18_vgpr19
                                        ; implicit-def: $vgpr10_vgpr11
                                        ; implicit-def: $vgpr14_vgpr15
	v_mov_b32_e32 v26, 0
	s_delay_alu instid0(VALU_DEP_2) | instskip(NEXT) | instid1(VALU_DEP_1)
	v_lshrrev_b32_e32 v1, 16, v1
	v_mad_co_u64_u32 v[20:21], null, ttmp9, 13, v[1:2]
	v_mul_lo_u16 v1, v1, 15
	v_mov_b32_e32 v21, 0
	s_delay_alu instid0(VALU_DEP_2)
	v_sub_nc_u16 v29, v0, v1
	v_mov_b32_e32 v27, 0
	s_wait_kmcnt 0x0
	s_load_b64 s[8:9], s[4:5], 0x8
	s_clause 0x1
	s_load_b64 s[4:5], s[0:1], 0x0
	s_load_b64 s[2:3], s[0:1], 0x48
	v_cmp_gt_u64_e32 vcc_lo, s[6:7], v[20:21]
	v_and_b32_e32 v28, 0xffff, v29
                                        ; kill: def $vgpr0_vgpr1 killed $sgpr0_sgpr1 killed $exec
	s_wait_kmcnt 0x0
	v_mad_co_u64_u32 v[2:3], null, s8, v20, 0
	s_delay_alu instid0(VALU_DEP_1) | instskip(NEXT) | instid1(VALU_DEP_1)
	v_mad_co_u64_u32 v[3:4], null, s9, v20, v[3:4]
                                        ; kill: def $vgpr4 killed $sgpr0 killed $exec
	v_lshlrev_b64_e32 v[24:25], 4, v[2:3]
                                        ; implicit-def: $vgpr2_vgpr3
	s_and_saveexec_b32 s1, vcc_lo
; %bb.1:
	v_lshlrev_b32_e32 v0, 4, v28
	s_delay_alu instid0(VALU_DEP_2) | instskip(SKIP_1) | instid1(VALU_DEP_3)
	v_add_co_u32 v1, s0, s2, v24
	s_wait_alu 0xf1ff
	v_add_co_ci_u32_e64 v2, s0, s3, v25, s0
	v_dual_mov_b32 v26, v28 :: v_dual_mov_b32 v27, v29
	s_delay_alu instid0(VALU_DEP_3) | instskip(SKIP_1) | instid1(VALU_DEP_3)
	v_add_co_u32 v0, s0, v1, v0
	s_wait_alu 0xf1ff
	v_add_co_ci_u32_e64 v1, s0, 0, v2, s0
	s_clause 0x4
	global_load_b128 v[12:15], v[0:1], off
	global_load_b128 v[8:11], v[0:1], off offset:240
	global_load_b128 v[16:19], v[0:1], off offset:480
	;; [unrolled: 1-line block ×4, first 2 shown]
; %bb.2:
	s_wait_alu 0xfffe
	s_or_b32 exec_lo, exec_lo, s1
	s_wait_loadcnt 0x1
	v_add_f64_e32 v[21:22], v[4:5], v[16:17]
	s_wait_loadcnt 0x0
	v_add_f64_e32 v[30:31], v[0:1], v[8:9]
	v_add_f64_e32 v[32:33], v[6:7], v[18:19]
	;; [unrolled: 1-line block ×5, first 2 shown]
	v_add_f64_e64 v[38:39], v[10:11], -v[2:3]
	v_add_f64_e64 v[40:41], v[18:19], -v[6:7]
	;; [unrolled: 1-line block ×3, first 2 shown]
	s_mov_b32 s0, 0x134454ff
	s_mov_b32 s1, 0xbfee6f0e
	s_mov_b32 s7, 0x3fee6f0e
	s_wait_alu 0xfffe
	s_mov_b32 s6, s0
	v_add_f64_e64 v[50:51], v[10:11], -v[18:19]
	v_add_f64_e64 v[10:11], v[18:19], -v[10:11]
	;; [unrolled: 1-line block ×6, first 2 shown]
	v_fma_f64 v[21:22], v[21:22], -0.5, v[12:13]
	v_fma_f64 v[12:13], v[30:31], -0.5, v[12:13]
	;; [unrolled: 1-line block ×3, first 2 shown]
	v_add_f64_e64 v[30:31], v[16:17], -v[4:5]
	v_fma_f64 v[14:15], v[34:35], -0.5, v[14:15]
	v_add_f64_e64 v[34:35], v[8:9], -v[16:17]
	v_add_f64_e64 v[8:9], v[16:17], -v[8:9]
	v_add_f64_e32 v[16:17], v[16:17], v[36:37]
	v_add_f64_e32 v[18:19], v[18:19], v[42:43]
	v_fma_f64 v[36:37], v[38:39], s[0:1], v[21:22]
	s_wait_alu 0xfffe
	v_fma_f64 v[21:22], v[38:39], s[6:7], v[21:22]
	v_fma_f64 v[42:43], v[40:41], s[6:7], v[12:13]
	;; [unrolled: 1-line block ×7, first 2 shown]
	s_mov_b32 s0, 0x4755a5e
	s_mov_b32 s1, 0xbfe2cf23
	;; [unrolled: 1-line block ×3, first 2 shown]
	s_wait_alu 0xfffe
	s_mov_b32 s6, s0
	v_add_f64_e32 v[4:5], v[4:5], v[16:17]
	v_add_f64_e32 v[6:7], v[6:7], v[18:19]
	v_add_f64_e32 v[34:35], v[46:47], v[34:35]
	v_add_f64_e32 v[46:47], v[48:49], v[8:9]
	v_add_f64_e32 v[48:49], v[52:53], v[50:51]
	v_add_f64_e32 v[50:51], v[54:55], v[10:11]
	v_mul_hi_u32 v8, 0x4ec4ec4f, v20
	s_delay_alu instid0(VALU_DEP_1)
	v_lshrrev_b32_e32 v23, 2, v8
	v_fma_f64 v[16:17], v[40:41], s[0:1], v[36:37]
	s_wait_alu 0xfffe
	v_fma_f64 v[18:19], v[40:41], s[6:7], v[21:22]
	v_fma_f64 v[21:22], v[38:39], s[0:1], v[42:43]
	;; [unrolled: 1-line block ×7, first 2 shown]
	s_mov_b32 s0, 0x372fe950
	s_mov_b32 s1, 0x3fd3c6ef
	v_add_f64_e32 v[8:9], v[0:1], v[4:5]
	v_add_f64_e32 v[10:11], v[2:3], v[6:7]
	s_wait_alu 0xfffe
	v_fma_f64 v[12:13], v[34:35], s[0:1], v[16:17]
	v_fma_f64 v[4:5], v[34:35], s[0:1], v[18:19]
	;; [unrolled: 1-line block ×8, first 2 shown]
	v_mul_lo_u32 v21, v23, 13
	v_lshlrev_b32_e32 v31, 6, v28
	v_cmp_gt_u16_e64 s0, 10, v29
	s_delay_alu instid0(VALU_DEP_3) | instskip(NEXT) | instid1(VALU_DEP_1)
	v_sub_nc_u32_e32 v20, v20, v21
	v_mul_u32_u24_e32 v32, 0x4b, v20
	s_delay_alu instid0(VALU_DEP_1) | instskip(NEXT) | instid1(VALU_DEP_1)
	v_lshl_add_u32 v20, v32, 4, 0
	v_mad_u32_u24 v21, 0x50, v28, v20
	v_lshl_add_u32 v27, v28, 4, v20
	ds_store_b128 v21, v[8:11]
	ds_store_b128 v21, v[12:15] offset:16
	ds_store_b128 v21, v[16:19] offset:32
	;; [unrolled: 1-line block ×4, first 2 shown]
	v_sub_nc_u32_e32 v30, v21, v31
	global_wb scope:SCOPE_SE
	s_wait_dscnt 0x0
	s_barrier_signal -1
	s_barrier_wait -1
	global_inv scope:SCOPE_SE
	ds_load_b128 v[12:15], v27
	ds_load_b128 v[16:19], v30 offset:400
	ds_load_b128 v[20:23], v30 offset:800
                                        ; kill: def $vgpr8_vgpr9 killed $sgpr0_sgpr1 killed $exec
                                        ; implicit-def: $vgpr10_vgpr11
	s_and_saveexec_b32 s1, s0
	s_cbranch_execz .LBB0_4
; %bb.3:
	ds_load_b128 v[0:3], v30 offset:240
	ds_load_b128 v[4:7], v30 offset:640
	;; [unrolled: 1-line block ×3, first 2 shown]
.LBB0_4:
	s_wait_alu 0xfffe
	s_or_b32 exec_lo, exec_lo, s1
	v_and_b32_e32 v33, 0xff, v29
	s_mov_b32 s6, 0xe8584caa
	s_mov_b32 s7, 0xbfebb67a
	;; [unrolled: 1-line block ×3, first 2 shown]
	s_wait_alu 0xfffe
	s_mov_b32 s8, s6
	v_mul_lo_u16 v33, 0xcd, v33
	s_delay_alu instid0(VALU_DEP_1) | instskip(NEXT) | instid1(VALU_DEP_1)
	v_lshrrev_b16 v45, 10, v33
	v_mul_lo_u16 v33, v45, 5
	s_delay_alu instid0(VALU_DEP_1) | instskip(NEXT) | instid1(VALU_DEP_1)
	v_sub_nc_u16 v29, v29, v33
	v_and_b32_e32 v29, 0xff, v29
	s_delay_alu instid0(VALU_DEP_1)
	v_lshlrev_b32_e32 v37, 5, v29
	s_clause 0x1
	global_load_b128 v[33:36], v37, s[4:5]
	global_load_b128 v[37:40], v37, s[4:5] offset:16
	global_wb scope:SCOPE_SE
	s_wait_loadcnt_dscnt 0x0
	s_barrier_signal -1
	s_barrier_wait -1
	global_inv scope:SCOPE_SE
	v_mul_f64_e32 v[41:42], v[18:19], v[35:36]
	v_mul_f64_e32 v[43:44], v[22:23], v[39:40]
	;; [unrolled: 1-line block ×4, first 2 shown]
	s_delay_alu instid0(VALU_DEP_4) | instskip(NEXT) | instid1(VALU_DEP_4)
	v_fma_f64 v[16:17], v[16:17], v[33:34], v[41:42]
	v_fma_f64 v[20:21], v[20:21], v[37:38], v[43:44]
	s_delay_alu instid0(VALU_DEP_4) | instskip(NEXT) | instid1(VALU_DEP_4)
	v_fma_f64 v[18:19], v[18:19], v[33:34], -v[35:36]
	v_fma_f64 v[22:23], v[22:23], v[37:38], -v[39:40]
	s_delay_alu instid0(VALU_DEP_4) | instskip(NEXT) | instid1(VALU_DEP_4)
	v_add_f64_e32 v[37:38], v[12:13], v[16:17]
	v_add_f64_e32 v[33:34], v[16:17], v[20:21]
	v_add_f64_e64 v[41:42], v[16:17], -v[20:21]
	s_delay_alu instid0(VALU_DEP_4)
	v_add_f64_e32 v[35:36], v[18:19], v[22:23]
	v_add_f64_e64 v[39:40], v[18:19], -v[22:23]
	v_add_f64_e32 v[18:19], v[14:15], v[18:19]
	v_fma_f64 v[33:34], v[33:34], -0.5, v[12:13]
	v_lshlrev_b32_e32 v12, 4, v32
	v_fma_f64 v[35:36], v[35:36], -0.5, v[14:15]
	v_add_f64_e32 v[13:14], v[37:38], v[20:21]
	v_add_f64_e32 v[15:16], v[18:19], v[22:23]
	v_and_b32_e32 v21, 0xffff, v45
	v_lshlrev_b32_e32 v22, 4, v29
	s_delay_alu instid0(VALU_DEP_2) | instskip(NEXT) | instid1(VALU_DEP_1)
	v_mad_u32_u24 v21, 0xf0, v21, 0
	v_add3_u32 v21, v21, v22, v12
	v_fma_f64 v[17:18], v[39:40], s[6:7], v[33:34]
	s_wait_alu 0xfffe
	v_fma_f64 v[33:34], v[39:40], s[8:9], v[33:34]
	v_fma_f64 v[19:20], v[41:42], s[8:9], v[35:36]
	;; [unrolled: 1-line block ×3, first 2 shown]
	ds_store_b128 v21, v[13:16]
	ds_store_b128 v21, v[17:20] offset:80
	ds_store_b128 v21, v[33:36] offset:160
	s_and_saveexec_b32 s1, s0
	s_cbranch_execz .LBB0_6
; %bb.5:
	v_add_nc_u16 v13, v28, 15
	s_delay_alu instid0(VALU_DEP_1) | instskip(NEXT) | instid1(VALU_DEP_1)
	v_and_b32_e32 v14, 0xff, v13
	v_mul_lo_u16 v14, 0xcd, v14
	s_delay_alu instid0(VALU_DEP_1) | instskip(NEXT) | instid1(VALU_DEP_1)
	v_lshrrev_b16 v23, 10, v14
	v_mul_lo_u16 v14, v23, 5
	s_delay_alu instid0(VALU_DEP_1) | instskip(NEXT) | instid1(VALU_DEP_1)
	v_sub_nc_u16 v13, v13, v14
	v_and_b32_e32 v32, 0xff, v13
	s_delay_alu instid0(VALU_DEP_1)
	v_lshlrev_b32_e32 v17, 5, v32
	s_clause 0x1
	global_load_b128 v[13:16], v17, s[4:5]
	global_load_b128 v[17:20], v17, s[4:5] offset:16
	s_wait_loadcnt 0x1
	v_mul_f64_e32 v[21:22], v[4:5], v[15:16]
	s_wait_loadcnt 0x0
	v_mul_f64_e32 v[28:29], v[8:9], v[19:20]
	v_mul_f64_e32 v[15:16], v[6:7], v[15:16]
	;; [unrolled: 1-line block ×3, first 2 shown]
	s_delay_alu instid0(VALU_DEP_4) | instskip(NEXT) | instid1(VALU_DEP_4)
	v_fma_f64 v[6:7], v[6:7], v[13:14], -v[21:22]
	v_fma_f64 v[10:11], v[10:11], v[17:18], -v[28:29]
	s_delay_alu instid0(VALU_DEP_4) | instskip(NEXT) | instid1(VALU_DEP_4)
	v_fma_f64 v[4:5], v[4:5], v[13:14], v[15:16]
	v_fma_f64 v[8:9], v[8:9], v[17:18], v[19:20]
	s_delay_alu instid0(VALU_DEP_4) | instskip(NEXT) | instid1(VALU_DEP_4)
	v_add_f64_e32 v[19:20], v[2:3], v[6:7]
	v_add_f64_e32 v[13:14], v[6:7], v[10:11]
	v_add_f64_e64 v[21:22], v[6:7], -v[10:11]
	s_delay_alu instid0(VALU_DEP_4)
	v_add_f64_e32 v[15:16], v[4:5], v[8:9]
	v_add_f64_e64 v[17:18], v[4:5], -v[8:9]
	v_add_f64_e32 v[4:5], v[0:1], v[4:5]
	v_fma_f64 v[13:14], v[13:14], -0.5, v[2:3]
	v_add_f64_e32 v[2:3], v[19:20], v[10:11]
	v_fma_f64 v[15:16], v[15:16], -0.5, v[0:1]
	s_delay_alu instid0(VALU_DEP_4) | instskip(NEXT) | instid1(VALU_DEP_4)
	v_add_f64_e32 v[0:1], v[4:5], v[8:9]
	v_fma_f64 v[10:11], v[17:18], s[8:9], v[13:14]
	v_fma_f64 v[6:7], v[17:18], s[6:7], v[13:14]
	s_delay_alu instid0(VALU_DEP_4) | instskip(SKIP_3) | instid1(VALU_DEP_2)
	v_fma_f64 v[8:9], v[21:22], s[6:7], v[15:16]
	v_fma_f64 v[4:5], v[21:22], s[8:9], v[15:16]
	v_mul_lo_u16 v13, v23, 15
	v_lshl_add_u32 v14, v32, 4, 0
	v_and_b32_e32 v13, 0xff, v13
	s_delay_alu instid0(VALU_DEP_1) | instskip(NEXT) | instid1(VALU_DEP_1)
	v_lshlrev_b32_e32 v13, 4, v13
	v_add3_u32 v12, v14, v13, v12
	ds_store_b128 v12, v[0:3]
	ds_store_b128 v12, v[8:11] offset:80
	ds_store_b128 v12, v[4:7] offset:160
.LBB0_6:
	s_wait_alu 0xfffe
	s_or_b32 exec_lo, exec_lo, s1
	global_wb scope:SCOPE_SE
	s_wait_dscnt 0x0
	s_barrier_signal -1
	s_barrier_wait -1
	global_inv scope:SCOPE_SE
	s_and_saveexec_b32 s0, vcc_lo
	s_cbranch_execz .LBB0_8
; %bb.7:
	s_clause 0x3
	global_load_b128 v[0:3], v31, s[4:5] offset:176
	global_load_b128 v[4:7], v31, s[4:5] offset:160
	;; [unrolled: 1-line block ×4, first 2 shown]
	ds_load_b128 v[16:19], v30 offset:480
	ds_load_b128 v[20:23], v30 offset:240
	;; [unrolled: 1-line block ×4, first 2 shown]
	ds_load_b128 v[27:30], v27
	s_mov_b32 s0, 0x134454ff
	s_mov_b32 s1, 0x3fee6f0e
	s_mov_b32 s5, 0xbfee6f0e
	s_wait_alu 0xfffe
	s_mov_b32 s4, s0
	s_wait_loadcnt_dscnt 0x304
	v_mul_f64_e32 v[39:40], v[2:3], v[16:17]
	s_wait_loadcnt_dscnt 0x203
	v_mul_f64_e32 v[41:42], v[6:7], v[20:21]
	;; [unrolled: 2-line block ×4, first 2 shown]
	v_mul_f64_e32 v[16:17], v[0:1], v[16:17]
	v_mul_f64_e32 v[35:36], v[12:13], v[35:36]
	;; [unrolled: 1-line block ×4, first 2 shown]
	v_fma_f64 v[0:1], v[0:1], v[18:19], -v[39:40]
	v_fma_f64 v[4:5], v[4:5], v[22:23], -v[41:42]
	;; [unrolled: 1-line block ×4, first 2 shown]
	v_fma_f64 v[2:3], v[18:19], v[2:3], v[16:17]
	v_fma_f64 v[14:15], v[37:38], v[14:15], v[35:36]
	;; [unrolled: 1-line block ×4, first 2 shown]
	s_wait_dscnt 0x0
	v_add_f64_e32 v[35:36], v[4:5], v[29:30]
	v_add_f64_e32 v[16:17], v[4:5], v[8:9]
	v_add_f64_e32 v[18:19], v[0:1], v[12:13]
	v_add_f64_e64 v[39:40], v[4:5], -v[8:9]
	v_add_f64_e32 v[20:21], v[2:3], v[14:15]
	v_add_f64_e32 v[37:38], v[6:7], v[27:28]
	;; [unrolled: 1-line block ×3, first 2 shown]
	v_add_f64_e64 v[31:32], v[2:3], -v[14:15]
	v_add_f64_e64 v[33:34], v[6:7], -v[10:11]
	;; [unrolled: 1-line block ×8, first 2 shown]
	v_fma_f64 v[16:17], v[16:17], -0.5, v[29:30]
	v_fma_f64 v[18:19], v[18:19], -0.5, v[29:30]
	v_add_f64_e64 v[29:30], v[0:1], -v[12:13]
	v_fma_f64 v[20:21], v[20:21], -0.5, v[27:28]
	v_add_f64_e32 v[2:3], v[2:3], v[37:38]
	v_fma_f64 v[22:23], v[22:23], -0.5, v[27:28]
	v_add_f64_e64 v[27:28], v[0:1], -v[4:5]
	v_add_f64_e64 v[4:5], v[4:5], -v[0:1]
	v_add_f64_e32 v[0:1], v[0:1], v[35:36]
	v_fma_f64 v[35:36], v[31:32], s[0:1], v[16:17]
	v_fma_f64 v[16:17], v[31:32], s[4:5], v[16:17]
	;; [unrolled: 1-line block ×8, first 2 shown]
	s_mov_b32 s0, 0x4755a5e
	s_mov_b32 s1, 0xbfe2cf23
	;; [unrolled: 1-line block ×3, first 2 shown]
	s_wait_alu 0xfffe
	s_mov_b32 s4, s0
	v_add_f64_e32 v[4:5], v[4:5], v[43:44]
	v_add_f64_e32 v[43:44], v[6:7], v[49:50]
	;; [unrolled: 1-line block ×6, first 2 shown]
	v_fma_f64 v[12:13], v[33:34], s[0:1], v[35:36]
	s_wait_alu 0xfffe
	v_fma_f64 v[14:15], v[33:34], s[4:5], v[16:17]
	v_fma_f64 v[16:17], v[31:32], s[0:1], v[37:38]
	;; [unrolled: 1-line block ×7, first 2 shown]
	s_mov_b32 s0, 0x372fe950
	s_mov_b32 s1, 0x3fd3c6ef
	v_add_f64_e32 v[2:3], v[8:9], v[0:1]
	v_add_f64_e32 v[0:1], v[10:11], v[6:7]
	s_wait_alu 0xfffe
	v_fma_f64 v[6:7], v[27:28], s[0:1], v[12:13]
	v_fma_f64 v[10:11], v[27:28], s[0:1], v[14:15]
	v_fma_f64 v[14:15], v[4:5], s[0:1], v[16:17]
	v_fma_f64 v[18:19], v[4:5], s[0:1], v[18:19]
	v_fma_f64 v[16:17], v[43:44], s[0:1], v[31:32]
	v_fma_f64 v[8:9], v[41:42], s[0:1], v[33:34]
	v_fma_f64 v[4:5], v[41:42], s[0:1], v[22:23]
	v_fma_f64 v[12:13], v[43:44], s[0:1], v[20:21]
	v_lshlrev_b32_e32 v20, 4, v26
	v_add_co_u32 v21, vcc_lo, s2, v24
	v_add_co_ci_u32_e32 v22, vcc_lo, s3, v25, vcc_lo
	s_delay_alu instid0(VALU_DEP_2) | instskip(SKIP_1) | instid1(VALU_DEP_2)
	v_add_co_u32 v20, vcc_lo, v21, v20
	s_wait_alu 0xfffd
	v_add_co_ci_u32_e32 v21, vcc_lo, 0, v22, vcc_lo
	s_clause 0x4
	global_store_b128 v[20:21], v[0:3], off
	global_store_b128 v[20:21], v[16:19], off offset:240
	global_store_b128 v[20:21], v[8:11], off offset:480
	;; [unrolled: 1-line block ×4, first 2 shown]
.LBB0_8:
	s_nop 0
	s_sendmsg sendmsg(MSG_DEALLOC_VGPRS)
	s_endpgm
	.section	.rodata,"a",@progbits
	.p2align	6, 0x0
	.amdhsa_kernel fft_rtc_back_len75_factors_5_3_5_wgs_195_tpt_15_dim1_dp_ip_CI_unitstride_sbrr_dirReg
		.amdhsa_group_segment_fixed_size 0
		.amdhsa_private_segment_fixed_size 0
		.amdhsa_kernarg_size 80
		.amdhsa_user_sgpr_count 2
		.amdhsa_user_sgpr_dispatch_ptr 0
		.amdhsa_user_sgpr_queue_ptr 0
		.amdhsa_user_sgpr_kernarg_segment_ptr 1
		.amdhsa_user_sgpr_dispatch_id 0
		.amdhsa_user_sgpr_private_segment_size 0
		.amdhsa_wavefront_size32 1
		.amdhsa_uses_dynamic_stack 0
		.amdhsa_enable_private_segment 0
		.amdhsa_system_sgpr_workgroup_id_x 1
		.amdhsa_system_sgpr_workgroup_id_y 0
		.amdhsa_system_sgpr_workgroup_id_z 0
		.amdhsa_system_sgpr_workgroup_info 0
		.amdhsa_system_vgpr_workitem_id 0
		.amdhsa_next_free_vgpr 60
		.amdhsa_next_free_sgpr 10
		.amdhsa_reserve_vcc 1
		.amdhsa_float_round_mode_32 0
		.amdhsa_float_round_mode_16_64 0
		.amdhsa_float_denorm_mode_32 3
		.amdhsa_float_denorm_mode_16_64 3
		.amdhsa_fp16_overflow 0
		.amdhsa_workgroup_processor_mode 1
		.amdhsa_memory_ordered 1
		.amdhsa_forward_progress 0
		.amdhsa_round_robin_scheduling 0
		.amdhsa_exception_fp_ieee_invalid_op 0
		.amdhsa_exception_fp_denorm_src 0
		.amdhsa_exception_fp_ieee_div_zero 0
		.amdhsa_exception_fp_ieee_overflow 0
		.amdhsa_exception_fp_ieee_underflow 0
		.amdhsa_exception_fp_ieee_inexact 0
		.amdhsa_exception_int_div_zero 0
	.end_amdhsa_kernel
	.text
.Lfunc_end0:
	.size	fft_rtc_back_len75_factors_5_3_5_wgs_195_tpt_15_dim1_dp_ip_CI_unitstride_sbrr_dirReg, .Lfunc_end0-fft_rtc_back_len75_factors_5_3_5_wgs_195_tpt_15_dim1_dp_ip_CI_unitstride_sbrr_dirReg
                                        ; -- End function
	.section	.AMDGPU.csdata,"",@progbits
; Kernel info:
; codeLenInByte = 2564
; NumSgprs: 12
; NumVgprs: 60
; ScratchSize: 0
; MemoryBound: 1
; FloatMode: 240
; IeeeMode: 1
; LDSByteSize: 0 bytes/workgroup (compile time only)
; SGPRBlocks: 1
; VGPRBlocks: 7
; NumSGPRsForWavesPerEU: 12
; NumVGPRsForWavesPerEU: 60
; Occupancy: 16
; WaveLimiterHint : 1
; COMPUTE_PGM_RSRC2:SCRATCH_EN: 0
; COMPUTE_PGM_RSRC2:USER_SGPR: 2
; COMPUTE_PGM_RSRC2:TRAP_HANDLER: 0
; COMPUTE_PGM_RSRC2:TGID_X_EN: 1
; COMPUTE_PGM_RSRC2:TGID_Y_EN: 0
; COMPUTE_PGM_RSRC2:TGID_Z_EN: 0
; COMPUTE_PGM_RSRC2:TIDIG_COMP_CNT: 0
	.text
	.p2alignl 7, 3214868480
	.fill 96, 4, 3214868480
	.type	__hip_cuid_12bf02c7acb81fb,@object ; @__hip_cuid_12bf02c7acb81fb
	.section	.bss,"aw",@nobits
	.globl	__hip_cuid_12bf02c7acb81fb
__hip_cuid_12bf02c7acb81fb:
	.byte	0                               ; 0x0
	.size	__hip_cuid_12bf02c7acb81fb, 1

	.ident	"AMD clang version 19.0.0git (https://github.com/RadeonOpenCompute/llvm-project roc-6.4.0 25133 c7fe45cf4b819c5991fe208aaa96edf142730f1d)"
	.section	".note.GNU-stack","",@progbits
	.addrsig
	.addrsig_sym __hip_cuid_12bf02c7acb81fb
	.amdgpu_metadata
---
amdhsa.kernels:
  - .args:
      - .actual_access:  read_only
        .address_space:  global
        .offset:         0
        .size:           8
        .value_kind:     global_buffer
      - .actual_access:  read_only
        .address_space:  global
        .offset:         8
        .size:           8
        .value_kind:     global_buffer
      - .actual_access:  read_only
        .address_space:  global
        .offset:         16
        .size:           8
        .value_kind:     global_buffer
      - .offset:         24
        .size:           8
        .value_kind:     by_value
      - .actual_access:  read_only
        .address_space:  global
        .offset:         32
        .size:           8
        .value_kind:     global_buffer
      - .actual_access:  read_only
        .address_space:  global
        .offset:         40
        .size:           8
        .value_kind:     global_buffer
      - .offset:         48
        .size:           4
        .value_kind:     by_value
      - .actual_access:  read_only
        .address_space:  global
        .offset:         56
        .size:           8
        .value_kind:     global_buffer
      - .actual_access:  read_only
        .address_space:  global
        .offset:         64
        .size:           8
        .value_kind:     global_buffer
      - .address_space:  global
        .offset:         72
        .size:           8
        .value_kind:     global_buffer
    .group_segment_fixed_size: 0
    .kernarg_segment_align: 8
    .kernarg_segment_size: 80
    .language:       OpenCL C
    .language_version:
      - 2
      - 0
    .max_flat_workgroup_size: 195
    .name:           fft_rtc_back_len75_factors_5_3_5_wgs_195_tpt_15_dim1_dp_ip_CI_unitstride_sbrr_dirReg
    .private_segment_fixed_size: 0
    .sgpr_count:     12
    .sgpr_spill_count: 0
    .symbol:         fft_rtc_back_len75_factors_5_3_5_wgs_195_tpt_15_dim1_dp_ip_CI_unitstride_sbrr_dirReg.kd
    .uniform_work_group_size: 1
    .uses_dynamic_stack: false
    .vgpr_count:     60
    .vgpr_spill_count: 0
    .wavefront_size: 32
    .workgroup_processor_mode: 1
amdhsa.target:   amdgcn-amd-amdhsa--gfx1201
amdhsa.version:
  - 1
  - 2
...

	.end_amdgpu_metadata
